;; amdgpu-corpus repo=ROCm/rocFFT kind=compiled arch=gfx906 opt=O3
	.text
	.amdgcn_target "amdgcn-amd-amdhsa--gfx906"
	.amdhsa_code_object_version 6
	.protected	fft_rtc_fwd_len224_factors_7_2_2_2_2_2_wgs_64_tpt_16_halfLds_dp_op_CI_CI_unitstride_sbrr_R2C_dirReg ; -- Begin function fft_rtc_fwd_len224_factors_7_2_2_2_2_2_wgs_64_tpt_16_halfLds_dp_op_CI_CI_unitstride_sbrr_R2C_dirReg
	.globl	fft_rtc_fwd_len224_factors_7_2_2_2_2_2_wgs_64_tpt_16_halfLds_dp_op_CI_CI_unitstride_sbrr_R2C_dirReg
	.p2align	8
	.type	fft_rtc_fwd_len224_factors_7_2_2_2_2_2_wgs_64_tpt_16_halfLds_dp_op_CI_CI_unitstride_sbrr_R2C_dirReg,@function
fft_rtc_fwd_len224_factors_7_2_2_2_2_2_wgs_64_tpt_16_halfLds_dp_op_CI_CI_unitstride_sbrr_R2C_dirReg: ; @fft_rtc_fwd_len224_factors_7_2_2_2_2_2_wgs_64_tpt_16_halfLds_dp_op_CI_CI_unitstride_sbrr_R2C_dirReg
; %bb.0:
	s_load_dwordx4 s[8:11], s[4:5], 0x58
	s_load_dwordx4 s[12:15], s[4:5], 0x0
	;; [unrolled: 1-line block ×3, first 2 shown]
	v_lshrrev_b32_e32 v7, 4, v0
	v_mov_b32_e32 v1, 0
	v_mov_b32_e32 v20, 0
	s_waitcnt lgkmcnt(0)
	v_cmp_lt_u64_e64 s[0:1], s[14:15], 2
	v_lshl_or_b32 v3, s6, 2, v7
	v_mov_b32_e32 v4, v1
	s_and_b64 vcc, exec, s[0:1]
	v_mov_b32_e32 v21, 0
	s_cbranch_vccnz .LBB0_8
; %bb.1:
	s_load_dwordx2 s[0:1], s[4:5], 0x10
	s_add_u32 s2, s18, 8
	s_addc_u32 s3, s19, 0
	s_add_u32 s6, s16, 8
	s_addc_u32 s7, s17, 0
	v_mov_b32_e32 v20, 0
	s_waitcnt lgkmcnt(0)
	s_add_u32 s20, s0, 8
	v_mov_b32_e32 v21, 0
	v_mov_b32_e32 v8, v20
	s_addc_u32 s21, s1, 0
	s_mov_b64 s[22:23], 1
	v_mov_b32_e32 v9, v21
.LBB0_2:                                ; =>This Inner Loop Header: Depth=1
	s_load_dwordx2 s[24:25], s[20:21], 0x0
                                        ; implicit-def: $vgpr12_vgpr13
	s_waitcnt lgkmcnt(0)
	v_or_b32_e32 v2, s25, v4
	v_cmp_ne_u64_e32 vcc, 0, v[1:2]
	s_and_saveexec_b64 s[0:1], vcc
	s_xor_b64 s[26:27], exec, s[0:1]
	s_cbranch_execz .LBB0_4
; %bb.3:                                ;   in Loop: Header=BB0_2 Depth=1
	v_cvt_f32_u32_e32 v2, s24
	v_cvt_f32_u32_e32 v5, s25
	s_sub_u32 s0, 0, s24
	s_subb_u32 s1, 0, s25
	v_mac_f32_e32 v2, 0x4f800000, v5
	v_rcp_f32_e32 v2, v2
	v_mul_f32_e32 v2, 0x5f7ffffc, v2
	v_mul_f32_e32 v5, 0x2f800000, v2
	v_trunc_f32_e32 v5, v5
	v_mac_f32_e32 v2, 0xcf800000, v5
	v_cvt_u32_f32_e32 v5, v5
	v_cvt_u32_f32_e32 v2, v2
	v_mul_lo_u32 v6, s0, v5
	v_mul_hi_u32 v10, s0, v2
	v_mul_lo_u32 v12, s1, v2
	v_mul_lo_u32 v11, s0, v2
	v_add_u32_e32 v6, v10, v6
	v_add_u32_e32 v6, v6, v12
	v_mul_hi_u32 v10, v2, v11
	v_mul_lo_u32 v12, v2, v6
	v_mul_hi_u32 v14, v2, v6
	v_mul_hi_u32 v13, v5, v11
	v_mul_lo_u32 v11, v5, v11
	v_mul_hi_u32 v15, v5, v6
	v_add_co_u32_e32 v10, vcc, v10, v12
	v_addc_co_u32_e32 v12, vcc, 0, v14, vcc
	v_mul_lo_u32 v6, v5, v6
	v_add_co_u32_e32 v10, vcc, v10, v11
	v_addc_co_u32_e32 v10, vcc, v12, v13, vcc
	v_addc_co_u32_e32 v11, vcc, 0, v15, vcc
	v_add_co_u32_e32 v6, vcc, v10, v6
	v_addc_co_u32_e32 v10, vcc, 0, v11, vcc
	v_add_co_u32_e32 v2, vcc, v2, v6
	v_addc_co_u32_e32 v5, vcc, v5, v10, vcc
	v_mul_lo_u32 v6, s0, v5
	v_mul_hi_u32 v10, s0, v2
	v_mul_lo_u32 v11, s1, v2
	v_mul_lo_u32 v12, s0, v2
	v_add_u32_e32 v6, v10, v6
	v_add_u32_e32 v6, v6, v11
	v_mul_lo_u32 v13, v2, v6
	v_mul_hi_u32 v14, v2, v12
	v_mul_hi_u32 v15, v2, v6
	v_mul_hi_u32 v11, v5, v12
	v_mul_lo_u32 v12, v5, v12
	v_mul_hi_u32 v10, v5, v6
	v_add_co_u32_e32 v13, vcc, v14, v13
	v_addc_co_u32_e32 v14, vcc, 0, v15, vcc
	v_mul_lo_u32 v6, v5, v6
	v_add_co_u32_e32 v12, vcc, v13, v12
	v_addc_co_u32_e32 v11, vcc, v14, v11, vcc
	v_addc_co_u32_e32 v10, vcc, 0, v10, vcc
	v_add_co_u32_e32 v6, vcc, v11, v6
	v_addc_co_u32_e32 v10, vcc, 0, v10, vcc
	v_add_co_u32_e32 v2, vcc, v2, v6
	v_addc_co_u32_e32 v10, vcc, v5, v10, vcc
	v_mad_u64_u32 v[5:6], s[0:1], v3, v10, 0
	v_mul_hi_u32 v11, v3, v2
	v_add_co_u32_e32 v12, vcc, v11, v5
	v_addc_co_u32_e32 v13, vcc, 0, v6, vcc
	v_mad_u64_u32 v[5:6], s[0:1], v4, v2, 0
	v_mad_u64_u32 v[10:11], s[0:1], v4, v10, 0
	v_add_co_u32_e32 v2, vcc, v12, v5
	v_addc_co_u32_e32 v2, vcc, v13, v6, vcc
	v_addc_co_u32_e32 v5, vcc, 0, v11, vcc
	v_add_co_u32_e32 v2, vcc, v2, v10
	v_addc_co_u32_e32 v10, vcc, 0, v5, vcc
	v_mul_lo_u32 v11, s25, v2
	v_mul_lo_u32 v12, s24, v10
	v_mad_u64_u32 v[5:6], s[0:1], s24, v2, 0
	v_add3_u32 v6, v6, v12, v11
	v_sub_u32_e32 v11, v4, v6
	v_mov_b32_e32 v12, s25
	v_sub_co_u32_e32 v5, vcc, v3, v5
	v_subb_co_u32_e64 v11, s[0:1], v11, v12, vcc
	v_subrev_co_u32_e64 v12, s[0:1], s24, v5
	v_subbrev_co_u32_e64 v11, s[0:1], 0, v11, s[0:1]
	v_cmp_le_u32_e64 s[0:1], s25, v11
	v_cndmask_b32_e64 v13, 0, -1, s[0:1]
	v_cmp_le_u32_e64 s[0:1], s24, v12
	v_cndmask_b32_e64 v12, 0, -1, s[0:1]
	v_cmp_eq_u32_e64 s[0:1], s25, v11
	v_cndmask_b32_e64 v11, v13, v12, s[0:1]
	v_add_co_u32_e64 v12, s[0:1], 2, v2
	v_addc_co_u32_e64 v13, s[0:1], 0, v10, s[0:1]
	v_add_co_u32_e64 v14, s[0:1], 1, v2
	v_addc_co_u32_e64 v15, s[0:1], 0, v10, s[0:1]
	v_subb_co_u32_e32 v6, vcc, v4, v6, vcc
	v_cmp_ne_u32_e64 s[0:1], 0, v11
	v_cmp_le_u32_e32 vcc, s25, v6
	v_cndmask_b32_e64 v11, v15, v13, s[0:1]
	v_cndmask_b32_e64 v13, 0, -1, vcc
	v_cmp_le_u32_e32 vcc, s24, v5
	v_cndmask_b32_e64 v5, 0, -1, vcc
	v_cmp_eq_u32_e32 vcc, s25, v6
	v_cndmask_b32_e32 v5, v13, v5, vcc
	v_cmp_ne_u32_e32 vcc, 0, v5
	v_cndmask_b32_e64 v5, v14, v12, s[0:1]
	v_cndmask_b32_e32 v13, v10, v11, vcc
	v_cndmask_b32_e32 v12, v2, v5, vcc
.LBB0_4:                                ;   in Loop: Header=BB0_2 Depth=1
	s_andn2_saveexec_b64 s[0:1], s[26:27]
	s_cbranch_execz .LBB0_6
; %bb.5:                                ;   in Loop: Header=BB0_2 Depth=1
	v_cvt_f32_u32_e32 v2, s24
	s_sub_i32 s26, 0, s24
	v_mov_b32_e32 v13, v1
	v_rcp_iflag_f32_e32 v2, v2
	v_mul_f32_e32 v2, 0x4f7ffffe, v2
	v_cvt_u32_f32_e32 v2, v2
	v_mul_lo_u32 v5, s26, v2
	v_mul_hi_u32 v5, v2, v5
	v_add_u32_e32 v2, v2, v5
	v_mul_hi_u32 v2, v3, v2
	v_mul_lo_u32 v5, v2, s24
	v_add_u32_e32 v6, 1, v2
	v_sub_u32_e32 v5, v3, v5
	v_subrev_u32_e32 v10, s24, v5
	v_cmp_le_u32_e32 vcc, s24, v5
	v_cndmask_b32_e32 v5, v5, v10, vcc
	v_cndmask_b32_e32 v2, v2, v6, vcc
	v_add_u32_e32 v6, 1, v2
	v_cmp_le_u32_e32 vcc, s24, v5
	v_cndmask_b32_e32 v12, v2, v6, vcc
.LBB0_6:                                ;   in Loop: Header=BB0_2 Depth=1
	s_or_b64 exec, exec, s[0:1]
	v_mul_lo_u32 v2, v13, s24
	v_mul_lo_u32 v10, v12, s25
	v_mad_u64_u32 v[5:6], s[0:1], v12, s24, 0
	s_load_dwordx2 s[0:1], s[6:7], 0x0
	s_load_dwordx2 s[24:25], s[2:3], 0x0
	v_add3_u32 v2, v6, v10, v2
	v_sub_co_u32_e32 v3, vcc, v3, v5
	v_subb_co_u32_e32 v2, vcc, v4, v2, vcc
	s_waitcnt lgkmcnt(0)
	v_mul_lo_u32 v4, s0, v2
	v_mul_lo_u32 v5, s1, v3
	v_mad_u64_u32 v[20:21], s[0:1], s0, v3, v[20:21]
	v_mul_lo_u32 v2, s24, v2
	v_mul_lo_u32 v6, s25, v3
	v_mad_u64_u32 v[8:9], s[0:1], s24, v3, v[8:9]
	s_add_u32 s22, s22, 1
	s_addc_u32 s23, s23, 0
	s_add_u32 s2, s2, 8
	v_add3_u32 v9, v6, v9, v2
	s_addc_u32 s3, s3, 0
	v_mov_b32_e32 v2, s14
	s_add_u32 s6, s6, 8
	v_mov_b32_e32 v3, s15
	s_addc_u32 s7, s7, 0
	v_cmp_ge_u64_e32 vcc, s[22:23], v[2:3]
	s_add_u32 s20, s20, 8
	v_add3_u32 v21, v5, v21, v4
	s_addc_u32 s21, s21, 0
	s_cbranch_vccnz .LBB0_9
; %bb.7:                                ;   in Loop: Header=BB0_2 Depth=1
	v_mov_b32_e32 v3, v12
	v_mov_b32_e32 v4, v13
	s_branch .LBB0_2
.LBB0_8:
	v_mov_b32_e32 v8, v20
	v_mov_b32_e32 v13, v4
	;; [unrolled: 1-line block ×4, first 2 shown]
.LBB0_9:
	s_load_dwordx2 s[0:1], s[4:5], 0x28
	s_lshl_b64 s[6:7], s[14:15], 3
	s_add_u32 s2, s18, s6
	s_addc_u32 s3, s19, s7
	v_and_b32_e32 v10, 15, v0
	s_waitcnt lgkmcnt(0)
	v_cmp_gt_u64_e32 vcc, s[0:1], v[12:13]
	v_cmp_le_u64_e64 s[0:1], s[0:1], v[12:13]
                                        ; implicit-def: $vgpr14
                                        ; implicit-def: $vgpr18
                                        ; implicit-def: $vgpr16
                                        ; implicit-def: $vgpr5
                                        ; implicit-def: $vgpr3
                                        ; implicit-def: $vgpr1
	s_and_saveexec_b64 s[4:5], s[0:1]
	s_xor_b64 s[0:1], exec, s[4:5]
	s_cbranch_execz .LBB0_11
; %bb.10:
	v_and_b32_e32 v10, 15, v0
	v_mov_b32_e32 v11, 0
	v_or_b32_e32 v14, 16, v10
	v_or_b32_e32 v18, 32, v10
	;; [unrolled: 1-line block ×6, first 2 shown]
	v_mov_b32_e32 v15, v11
	v_mov_b32_e32 v19, v11
	;; [unrolled: 1-line block ×6, first 2 shown]
                                        ; implicit-def: $vgpr20_vgpr21
.LBB0_11:
	s_or_saveexec_b64 s[4:5], s[0:1]
	v_mul_u32_u24_e32 v0, 0xe1, v7
	v_lshlrev_b32_e32 v26, 4, v0
	s_xor_b64 exec, exec, s[4:5]
	s_cbranch_execz .LBB0_13
; %bb.12:
	s_add_u32 s0, s16, s6
	s_addc_u32 s1, s17, s7
	s_load_dwordx2 s[0:1], s[0:1], 0x0
	v_mov_b32_e32 v6, s9
	v_lshlrev_b64 v[2:3], 4, v[20:21]
	v_mov_b32_e32 v11, 0
	v_or_b32_e32 v14, 16, v10
	s_waitcnt lgkmcnt(0)
	v_mul_lo_u32 v4, s1, v12
	v_mul_lo_u32 v5, s0, v13
	v_mad_u64_u32 v[0:1], s[0:1], s0, v12, 0
	v_or_b32_e32 v18, 32, v10
	v_or_b32_e32 v16, 48, v10
	v_add3_u32 v1, v1, v5, v4
	v_lshlrev_b64 v[0:1], 4, v[0:1]
	v_or_b32_e32 v5, 64, v10
	v_add_co_u32_e64 v0, s[0:1], s8, v0
	v_addc_co_u32_e64 v1, s[0:1], v6, v1, s[0:1]
	v_add_co_u32_e64 v0, s[0:1], v0, v2
	v_addc_co_u32_e64 v1, s[0:1], v1, v3, s[0:1]
	v_lshlrev_b32_e32 v2, 4, v10
	v_add_co_u32_e64 v0, s[0:1], v0, v2
	v_addc_co_u32_e64 v1, s[0:1], 0, v1, s[0:1]
	global_load_dwordx4 v[20:23], v[0:1], off
	global_load_dwordx4 v[27:30], v[0:1], off offset:256
	global_load_dwordx4 v[31:34], v[0:1], off offset:512
	;; [unrolled: 1-line block ×13, first 2 shown]
	v_or_b32_e32 v3, 0x50, v10
	v_or_b32_e32 v1, 0x60, v10
	v_add3_u32 v0, 0, v26, v2
	v_mov_b32_e32 v15, v11
	v_mov_b32_e32 v19, v11
	;; [unrolled: 1-line block ×6, first 2 shown]
	s_waitcnt vmcnt(13)
	ds_write_b128 v0, v[20:23]
	s_waitcnt vmcnt(12)
	ds_write_b128 v0, v[27:30] offset:256
	s_waitcnt vmcnt(11)
	ds_write_b128 v0, v[31:34] offset:512
	;; [unrolled: 2-line block ×13, first 2 shown]
.LBB0_13:
	s_or_b64 exec, exec, s[4:5]
	v_lshlrev_b32_e32 v0, 4, v10
	v_add3_u32 v7, 0, v0, v26
	s_load_dwordx2 s[2:3], s[2:3], 0x0
	s_waitcnt lgkmcnt(0)
	; wave barrier
	s_waitcnt lgkmcnt(0)
	ds_read_b128 v[20:23], v7 offset:3072
	ds_read_b128 v[27:30], v7 offset:512
	;; [unrolled: 1-line block ×8, first 2 shown]
	s_waitcnt lgkmcnt(6)
	v_add_f64 v[24:25], v[27:28], v[20:21]
	v_add_f64 v[31:32], v[29:30], v[22:23]
	ds_read_b128 v[58:61], v7 offset:2048
	ds_read_b128 v[62:65], v7 offset:1536
	s_waitcnt lgkmcnt(4)
	v_add_f64 v[68:69], v[46:47], v[42:43]
	v_add_f64 v[70:71], v[48:49], v[44:45]
	v_add_f64 v[46:47], v[46:47], -v[42:43]
	v_add_f64 v[80:81], v[34:35], -v[38:39]
	s_waitcnt lgkmcnt(0)
	v_add_f64 v[74:75], v[62:63], v[58:59]
	v_add_f64 v[76:77], v[64:65], v[60:61]
	v_add_f64 v[58:59], v[58:59], -v[62:63]
	v_add_f64 v[62:63], v[34:35], v[38:39]
	v_add_f64 v[42:43], v[68:69], v[24:25]
	;; [unrolled: 1-line block ×3, first 2 shown]
	v_add_u32_e32 v34, 0, v26
	v_add_u32_e32 v35, v34, v0
	v_add_f64 v[66:67], v[27:28], -v[20:21]
	v_add_f64 v[72:73], v[29:30], -v[22:23]
	ds_read_b128 v[20:23], v7 offset:1792
	ds_read_b128 v[27:30], v7 offset:2304
	v_add_f64 v[48:49], v[48:49], -v[44:45]
	v_add_f64 v[82:83], v[74:75], v[42:43]
	v_add_f64 v[78:79], v[76:77], v[78:79]
	ds_read_b128 v[42:45], v35
	v_add_f64 v[60:61], v[60:61], -v[64:65]
	v_add_f64 v[64:65], v[36:37], v[40:41]
	v_add_f64 v[84:85], v[36:37], -v[40:41]
	ds_read_b128 v[36:39], v7 offset:256
	s_mov_b32 s0, 0x36b3c0b5
	s_waitcnt lgkmcnt(1)
	v_add_f64 v[40:41], v[42:43], v[82:83]
	v_add_f64 v[42:43], v[44:45], v[78:79]
	v_add_f64 v[44:45], v[68:69], -v[24:25]
	v_add_f64 v[68:69], v[74:75], -v[68:69]
	s_mov_b32 s1, 0x3fac98ee
	v_add_f64 v[94:95], v[70:71], -v[31:32]
	v_add_f64 v[70:71], v[76:77], -v[70:71]
	;; [unrolled: 1-line block ×3, first 2 shown]
	s_mov_b32 s16, 0xaaaaaaaa
	s_mov_b32 s18, 0xe976ee23
	;; [unrolled: 1-line block ×3, first 2 shown]
	v_mul_f64 v[100:101], v[68:69], s[0:1]
	s_mov_b32 s17, 0xbff2aaaa
	s_mov_b32 s19, 0xbfe11646
	;; [unrolled: 1-line block ×3, first 2 shown]
	v_add_f64 v[92:93], v[60:61], v[48:49]
	v_add_f64 v[96:97], v[58:59], -v[46:47]
	v_add_f64 v[48:49], v[48:49], -v[72:73]
	v_fma_f64 v[82:83], v[82:83], s[16:17], v[40:41]
	v_mul_f64 v[102:103], v[70:71], s[0:1]
	v_mul_f64 v[98:99], v[98:99], s[18:19]
	v_fma_f64 v[100:101], v[44:45], s[24:25], -v[100:101]
	v_add_f64 v[24:25], v[24:25], -v[74:75]
	v_add_f64 v[31:32], v[31:32], -v[76:77]
	s_mov_b32 s6, 0x429ad128
	s_mov_b32 s22, 0x37e14327
	;; [unrolled: 1-line block ×4, first 2 shown]
	v_add_f64 v[86:87], v[50:51], v[54:55]
	v_add_f64 v[90:91], v[58:59], v[46:47]
	v_add_f64 v[46:47], v[46:47], -v[66:67]
	v_fma_f64 v[78:79], v[78:79], s[16:17], v[42:43]
	v_mul_f64 v[96:97], v[96:97], s[18:19]
	v_fma_f64 v[102:103], v[94:95], s[24:25], -v[102:103]
	v_fma_f64 v[104:105], v[48:49], s[6:7], -v[98:99]
	v_add_f64 v[108:109], v[50:51], -v[54:55]
	v_add_f64 v[50:51], v[100:101], v[82:83]
	v_add_f64 v[100:101], v[20:21], v[27:28]
	v_add_f64 v[74:75], v[27:28], -v[20:21]
	v_mul_f64 v[24:25], v[24:25], s[22:23]
	v_mul_f64 v[27:28], v[31:32], s[22:23]
	v_add_f64 v[31:32], v[72:73], -v[60:61]
	v_mul_f64 v[48:49], v[48:49], s[6:7]
	s_mov_b32 s8, 0xb247c609
	s_mov_b32 s21, 0xbfe77f67
	;; [unrolled: 1-line block ×6, first 2 shown]
	v_add_f64 v[88:89], v[52:53], v[56:57]
	v_add_f64 v[90:91], v[90:91], v[66:67]
	;; [unrolled: 1-line block ×3, first 2 shown]
	v_fma_f64 v[106:107], v[46:47], s[6:7], -v[96:97]
	v_add_f64 v[110:111], v[52:53], -v[56:57]
	v_add_f64 v[52:53], v[102:103], v[78:79]
	v_add_f64 v[102:103], v[22:23], v[29:30]
	v_add_f64 v[76:77], v[29:30], -v[22:23]
	v_add_f64 v[29:30], v[66:67], -v[58:59]
	v_mul_f64 v[46:47], v[46:47], s[6:7]
	v_fma_f64 v[44:45], v[44:45], s[20:21], -v[24:25]
	v_fma_f64 v[48:49], v[31:32], s[14:15], -v[48:49]
	v_fma_f64 v[24:25], v[68:69], s[0:1], v[24:25]
	v_fma_f64 v[31:32], v[31:32], s[8:9], v[98:99]
	s_mov_b32 s4, 0x37c3f68c
	s_mov_b32 s5, 0x3fdc38aa
	v_fma_f64 v[56:57], v[90:91], s[4:5], v[106:107]
	v_fma_f64 v[58:59], v[94:95], s[20:21], -v[27:28]
	v_fma_f64 v[46:47], v[29:30], s[14:15], -v[46:47]
	v_fma_f64 v[27:28], v[70:71], s[0:1], v[27:28]
	v_fma_f64 v[29:30], v[29:30], s[8:9], v[96:97]
	v_add_f64 v[24:25], v[24:25], v[82:83]
	v_fma_f64 v[31:32], v[92:93], s[4:5], v[31:32]
	v_fma_f64 v[54:55], v[92:93], s[4:5], v[104:105]
	v_add_f64 v[22:23], v[56:57], v[52:53]
	v_add_f64 v[60:61], v[44:45], v[82:83]
	;; [unrolled: 1-line block ×4, first 2 shown]
	v_fma_f64 v[70:71], v[90:91], s[4:5], v[29:30]
	v_add_f64 v[29:30], v[52:53], -v[56:57]
	v_add_f64 v[52:53], v[24:25], v[31:32]
	v_add_f64 v[56:57], v[24:25], -v[31:32]
	v_add_f64 v[24:25], v[86:87], v[62:63]
	v_fma_f64 v[48:49], v[92:93], s[4:5], v[48:49]
	v_fma_f64 v[66:67], v[90:91], s[4:5], v[46:47]
	s_movk_i32 s26, 0x70
	v_mad_u32_u24 v33, v10, s26, v34
	v_add_f64 v[20:21], v[50:51], -v[54:55]
	v_add_f64 v[27:28], v[50:51], v[54:55]
	v_add_f64 v[54:55], v[68:69], -v[70:71]
	s_waitcnt lgkmcnt(0)
	; wave barrier
	s_waitcnt lgkmcnt(0)
	ds_write_b128 v33, v[40:43]
	v_add_f64 v[40:41], v[100:101], v[24:25]
	v_add_f64 v[44:45], v[60:61], v[48:49]
	v_add_f64 v[46:47], v[58:59], -v[66:67]
	v_add_f64 v[48:49], v[60:61], -v[48:49]
	v_add_f64 v[50:51], v[66:67], v[58:59]
	v_add_f64 v[58:59], v[70:71], v[68:69]
	;; [unrolled: 1-line block ×3, first 2 shown]
	ds_write_b128 v33, v[52:55] offset:16
	ds_write_b128 v33, v[44:47] offset:32
	;; [unrolled: 1-line block ×6, first 2 shown]
	v_add_f64 v[21:22], v[36:37], v[40:41]
	v_add_f64 v[36:37], v[76:77], -v[110:111]
	v_add_f64 v[48:49], v[74:75], -v[108:109]
	v_add_f64 v[29:30], v[102:103], -v[88:89]
	v_add_f64 v[31:32], v[102:103], v[31:32]
	v_add_f64 v[58:59], v[62:63], -v[100:101]
	v_add_f64 v[60:61], v[64:65], -v[102:103]
	;; [unrolled: 1-line block ×4, first 2 shown]
	v_mul_f64 v[36:37], v[36:37], s[18:19]
	v_add_f64 v[56:57], v[108:109], -v[80:81]
	v_mul_f64 v[48:49], v[48:49], s[18:19]
	v_add_f64 v[23:24], v[38:39], v[31:32]
	v_add_f64 v[42:43], v[88:89], -v[64:65]
	v_add_f64 v[44:45], v[76:77], v[110:111]
	v_mul_f64 v[52:53], v[29:30], s[0:1]
	v_add_f64 v[54:55], v[74:75], v[108:109]
	v_add_f64 v[66:67], v[84:85], -v[76:77]
	v_mul_f64 v[58:59], v[58:59], s[22:23]
	v_mul_f64 v[60:61], v[60:61], s[22:23]
	v_add_f64 v[68:69], v[80:81], -v[74:75]
	v_add_f64 v[38:39], v[86:87], -v[62:63]
	v_mul_f64 v[50:51], v[27:28], s[0:1]
	v_fma_f64 v[62:63], v[46:47], s[6:7], -v[36:37]
	v_fma_f64 v[64:65], v[56:57], s[6:7], -v[48:49]
	v_mul_f64 v[46:47], v[46:47], s[6:7]
	v_mul_f64 v[56:57], v[56:57], s[6:7]
	v_fma_f64 v[40:41], v[40:41], s[16:17], v[21:22]
	v_fma_f64 v[31:32], v[31:32], s[16:17], v[23:24]
	v_fma_f64 v[52:53], v[42:43], s[24:25], -v[52:53]
	v_add_f64 v[54:55], v[54:55], v[80:81]
	v_add_f64 v[44:45], v[44:45], v[84:85]
	v_fma_f64 v[42:43], v[42:43], s[20:21], -v[60:61]
	v_fma_f64 v[27:28], v[27:28], s[0:1], v[58:59]
	v_fma_f64 v[29:30], v[29:30], s[0:1], v[60:61]
	v_fma_f64 v[36:37], v[66:67], s[8:9], v[36:37]
	v_fma_f64 v[48:49], v[68:69], s[8:9], v[48:49]
	v_fma_f64 v[50:51], v[38:39], s[24:25], -v[50:51]
	v_fma_f64 v[38:39], v[38:39], s[20:21], -v[58:59]
	;; [unrolled: 1-line block ×4, first 2 shown]
	v_add_f64 v[52:53], v[52:53], v[31:32]
	v_add_f64 v[60:61], v[42:43], v[31:32]
	v_add_f64 v[68:69], v[27:28], v[40:41]
	v_add_f64 v[31:32], v[29:30], v[31:32]
	v_fma_f64 v[70:71], v[44:45], s[4:5], v[36:37]
	v_fma_f64 v[72:73], v[54:55], s[4:5], v[48:49]
	;; [unrolled: 1-line block ×3, first 2 shown]
	v_add_f64 v[58:59], v[38:39], v[40:41]
	v_fma_f64 v[66:67], v[44:45], s[4:5], v[46:47]
	v_fma_f64 v[54:55], v[54:55], s[4:5], v[56:57]
	v_add_f64 v[50:51], v[50:51], v[40:41]
	v_fma_f64 v[62:63], v[44:45], s[4:5], v[62:63]
	v_add_f64 v[44:45], v[68:69], v[70:71]
	v_add_f64 v[46:47], v[31:32], -v[72:73]
	v_add_f64 v[29:30], v[64:65], v[52:53]
	v_add_f64 v[38:39], v[52:53], -v[64:65]
	;; [unrolled: 2-line block ×3, first 2 shown]
	v_add_f64 v[48:49], v[58:59], -v[66:67]
	v_add_f64 v[27:28], v[50:51], -v[62:63]
	v_add_f64 v[36:37], v[50:51], v[62:63]
	v_add_f64 v[50:51], v[54:55], v[60:61]
	v_add_f64 v[52:53], v[68:69], -v[70:71]
	v_add_f64 v[54:55], v[72:73], v[31:32]
	v_mad_i32_i24 v20, v14, s26, v34
	ds_write_b128 v20, v[21:24]
	ds_write_b128 v20, v[44:47] offset:16
	ds_write_b128 v20, v[40:43] offset:32
	;; [unrolled: 1-line block ×6, first 2 shown]
	v_mov_b32_e32 v21, 37
	v_mul_lo_u16_sdwa v22, v10, v21 dst_sel:DWORD dst_unused:UNUSED_PAD src0_sel:BYTE_0 src1_sel:DWORD
	v_sub_u16_sdwa v23, v10, v22 dst_sel:DWORD dst_unused:UNUSED_PAD src0_sel:DWORD src1_sel:BYTE_1
	v_lshrrev_b16_e32 v23, 1, v23
	v_and_b32_e32 v23, 0x7f, v23
	v_add_u16_sdwa v22, v23, v22 dst_sel:DWORD dst_unused:UNUSED_PAD src0_sel:DWORD src1_sel:BYTE_1
	v_lshrrev_b16_e32 v23, 2, v22
	v_mul_lo_u16_e32 v22, 7, v23
	v_sub_u16_e32 v22, v10, v22
	v_mov_b32_e32 v24, 4
	v_lshlrev_b32_sdwa v25, v24, v22 dst_sel:DWORD dst_unused:UNUSED_PAD src0_sel:DWORD src1_sel:BYTE_0
	v_mul_lo_u16_sdwa v22, v14, v21 dst_sel:DWORD dst_unused:UNUSED_PAD src0_sel:BYTE_0 src1_sel:DWORD
	v_sub_u16_sdwa v27, v14, v22 dst_sel:DWORD dst_unused:UNUSED_PAD src0_sel:DWORD src1_sel:BYTE_1
	v_lshrrev_b16_e32 v27, 1, v27
	v_and_b32_e32 v27, 0x7f, v27
	v_add_u16_sdwa v22, v27, v22 dst_sel:DWORD dst_unused:UNUSED_PAD src0_sel:DWORD src1_sel:BYTE_1
	v_lshrrev_b16_e32 v33, 2, v22
	v_mul_lo_u16_e32 v22, 7, v33
	v_sub_u16_e32 v22, v14, v22
	v_lshlrev_b32_sdwa v90, v24, v22 dst_sel:DWORD dst_unused:UNUSED_PAD src0_sel:DWORD src1_sel:BYTE_0
	v_mul_lo_u16_sdwa v22, v18, v21 dst_sel:DWORD dst_unused:UNUSED_PAD src0_sel:BYTE_0 src1_sel:DWORD
	v_sub_u16_sdwa v31, v18, v22 dst_sel:DWORD dst_unused:UNUSED_PAD src0_sel:DWORD src1_sel:BYTE_1
	v_lshrrev_b16_e32 v31, 1, v31
	v_and_b32_e32 v31, 0x7f, v31
	v_add_u16_sdwa v22, v31, v22 dst_sel:DWORD dst_unused:UNUSED_PAD src0_sel:DWORD src1_sel:BYTE_1
	v_lshrrev_b16_e32 v91, 2, v22
	v_mul_lo_u16_e32 v22, 7, v91
	v_sub_u16_e32 v22, v18, v22
	v_lshlrev_b32_sdwa v92, v24, v22 dst_sel:DWORD dst_unused:UNUSED_PAD src0_sel:DWORD src1_sel:BYTE_0
	v_mul_lo_u16_sdwa v22, v16, v21 dst_sel:DWORD dst_unused:UNUSED_PAD src0_sel:BYTE_0 src1_sel:DWORD
	v_sub_u16_sdwa v31, v16, v22 dst_sel:DWORD dst_unused:UNUSED_PAD src0_sel:DWORD src1_sel:BYTE_1
	v_lshrrev_b16_e32 v31, 1, v31
	v_and_b32_e32 v31, 0x7f, v31
	v_add_u16_sdwa v22, v31, v22 dst_sel:DWORD dst_unused:UNUSED_PAD src0_sel:DWORD src1_sel:BYTE_1
	v_lshrrev_b16_e32 v93, 2, v22
	v_mul_lo_u16_e32 v22, 7, v93
	s_waitcnt lgkmcnt(0)
	; wave barrier
	s_waitcnt lgkmcnt(0)
	global_load_dwordx4 v[27:30], v25, s[12:13]
	global_load_dwordx4 v[36:39], v90, s[12:13]
	v_sub_u16_e32 v22, v16, v22
	v_lshlrev_b32_sdwa v94, v24, v22 dst_sel:DWORD dst_unused:UNUSED_PAD src0_sel:DWORD src1_sel:BYTE_0
	v_mul_lo_u16_sdwa v22, v5, v21 dst_sel:DWORD dst_unused:UNUSED_PAD src0_sel:BYTE_0 src1_sel:DWORD
	v_sub_u16_sdwa v31, v5, v22 dst_sel:DWORD dst_unused:UNUSED_PAD src0_sel:DWORD src1_sel:BYTE_1
	v_lshrrev_b16_e32 v31, 1, v31
	global_load_dwordx4 v[40:43], v92, s[12:13]
	global_load_dwordx4 v[44:47], v94, s[12:13]
	v_and_b32_e32 v31, 0x7f, v31
	v_add_u16_sdwa v22, v31, v22 dst_sel:DWORD dst_unused:UNUSED_PAD src0_sel:DWORD src1_sel:BYTE_1
	v_lshrrev_b16_e32 v95, 2, v22
	v_mul_lo_u16_e32 v22, 7, v95
	v_sub_u16_e32 v22, v5, v22
	v_lshlrev_b32_sdwa v96, v24, v22 dst_sel:DWORD dst_unused:UNUSED_PAD src0_sel:DWORD src1_sel:BYTE_0
	v_mul_lo_u16_sdwa v22, v3, v21 dst_sel:DWORD dst_unused:UNUSED_PAD src0_sel:BYTE_0 src1_sel:DWORD
	v_sub_u16_sdwa v31, v3, v22 dst_sel:DWORD dst_unused:UNUSED_PAD src0_sel:DWORD src1_sel:BYTE_1
	v_lshrrev_b16_e32 v31, 1, v31
	v_and_b32_e32 v31, 0x7f, v31
	v_add_u16_sdwa v22, v31, v22 dst_sel:DWORD dst_unused:UNUSED_PAD src0_sel:DWORD src1_sel:BYTE_1
	v_lshrrev_b16_e32 v97, 2, v22
	v_mul_lo_u16_e32 v22, 7, v97
	v_sub_u16_e32 v22, v3, v22
	v_lshlrev_b32_sdwa v98, v24, v22 dst_sel:DWORD dst_unused:UNUSED_PAD src0_sel:DWORD src1_sel:BYTE_0
	global_load_dwordx4 v[48:51], v96, s[12:13]
	global_load_dwordx4 v[52:55], v98, s[12:13]
	v_mul_lo_u16_sdwa v21, v1, v21 dst_sel:DWORD dst_unused:UNUSED_PAD src0_sel:BYTE_0 src1_sel:DWORD
	v_sub_u16_sdwa v22, v1, v21 dst_sel:DWORD dst_unused:UNUSED_PAD src0_sel:DWORD src1_sel:BYTE_1
	v_lshrrev_b16_e32 v22, 1, v22
	v_and_b32_e32 v22, 0x7f, v22
	v_add_u16_sdwa v21, v22, v21 dst_sel:DWORD dst_unused:UNUSED_PAD src0_sel:DWORD src1_sel:BYTE_1
	v_lshrrev_b16_e32 v99, 2, v21
	v_mul_lo_u16_e32 v21, 7, v99
	v_sub_u16_e32 v21, v1, v21
	v_lshlrev_b32_sdwa v100, v24, v21 dst_sel:DWORD dst_unused:UNUSED_PAD src0_sel:DWORD src1_sel:BYTE_0
	global_load_dwordx4 v[56:59], v100, s[12:13]
	ds_read_b128 v[60:63], v7 offset:1792
	ds_read_b128 v[64:67], v7 offset:2048
	ds_read_b128 v[68:71], v35
	ds_read_b128 v[72:75], v7 offset:2304
	ds_read_b128 v[76:79], v7 offset:2816
	s_movk_i32 s0, 0xe0
	s_movk_i32 s1, 0xffa0
	s_waitcnt vmcnt(6) lgkmcnt(4)
	v_mul_f64 v[21:22], v[62:63], v[29:30]
	v_mul_f64 v[80:81], v[60:61], v[29:30]
	ds_read_b128 v[29:32], v7 offset:2560
	s_waitcnt vmcnt(5) lgkmcnt(4)
	v_mul_f64 v[82:83], v[66:67], v[38:39]
	v_mul_f64 v[38:39], v[64:65], v[38:39]
	s_waitcnt vmcnt(4) lgkmcnt(2)
	v_mul_f64 v[84:85], v[74:75], v[42:43]
	s_waitcnt vmcnt(3) lgkmcnt(0)
	v_mul_f64 v[86:87], v[31:32], v[46:47]
	v_fma_f64 v[21:22], v[60:61], v[27:28], -v[21:22]
	v_mul_f64 v[46:47], v[29:30], v[46:47]
	v_fma_f64 v[60:61], v[62:63], v[27:28], v[80:81]
	v_fma_f64 v[62:63], v[64:65], v[36:37], -v[82:83]
	v_mul_f64 v[42:43], v[72:73], v[42:43]
	v_fma_f64 v[64:65], v[66:67], v[36:37], v[38:39]
	v_fma_f64 v[80:81], v[72:73], v[40:41], -v[84:85]
	v_fma_f64 v[82:83], v[29:30], v[44:45], -v[86:87]
	ds_read_b128 v[27:30], v7 offset:3072
	v_fma_f64 v[31:32], v[31:32], v[44:45], v[46:47]
	ds_read_b128 v[36:39], v7 offset:3328
	v_fma_f64 v[73:74], v[74:75], v[40:41], v[42:43]
	v_add_f64 v[41:42], v[68:69], -v[21:22]
	s_waitcnt vmcnt(2)
	v_mul_f64 v[45:46], v[78:79], v[50:51]
	s_waitcnt vmcnt(1) lgkmcnt(1)
	v_mul_f64 v[66:67], v[29:30], v[54:55]
	v_mul_f64 v[54:55], v[27:28], v[54:55]
	;; [unrolled: 1-line block ×3, first 2 shown]
	v_add_f64 v[43:44], v[70:71], -v[60:61]
	v_mad_u32_u24 v21, v23, s0, 0
	v_add3_u32 v25, v21, v25, v26
	v_lshl_add_u32 v40, v18, 4, v34
	v_fma_f64 v[75:76], v[76:77], v[48:49], -v[45:46]
	v_fma_f64 v[45:46], v[68:69], 2.0, -v[41:42]
	v_fma_f64 v[86:87], v[29:30], v[52:53], v[54:55]
	v_mad_i32_i24 v30, v14, s1, v20
	ds_read_b128 v[20:23], v30
	s_waitcnt vmcnt(0) lgkmcnt(1)
	v_mul_f64 v[84:85], v[38:39], v[58:59]
	v_mul_f64 v[58:59], v[36:37], v[58:59]
	v_fma_f64 v[77:78], v[78:79], v[48:49], v[50:51]
	v_fma_f64 v[47:48], v[70:71], 2.0, -v[43:44]
	v_fma_f64 v[27:28], v[27:28], v[52:53], -v[66:67]
	s_waitcnt lgkmcnt(0)
	v_add_f64 v[61:62], v[20:21], -v[62:63]
	v_add_f64 v[63:64], v[22:23], -v[64:65]
	v_fma_f64 v[84:85], v[36:37], v[56:57], -v[84:85]
	v_fma_f64 v[88:89], v[38:39], v[56:57], v[58:59]
	v_lshl_add_u32 v39, v16, 4, v34
	v_lshl_add_u32 v38, v5, 4, v34
	ds_read_b128 v[49:52], v40
	ds_read_b128 v[53:56], v39
	;; [unrolled: 1-line block ×3, first 2 shown]
	v_lshl_add_u32 v37, v3, 4, v34
	v_lshl_add_u32 v36, v1, 4, v34
	ds_read_b128 v[65:68], v37
	ds_read_b128 v[69:72], v36
	s_waitcnt lgkmcnt(0)
	; wave barrier
	s_waitcnt lgkmcnt(0)
	ds_write_b128 v25, v[45:48]
	v_add_f64 v[45:46], v[49:50], -v[80:81]
	v_add_f64 v[47:48], v[51:52], -v[73:74]
	v_fma_f64 v[20:21], v[20:21], 2.0, -v[61:62]
	v_fma_f64 v[22:23], v[22:23], 2.0, -v[63:64]
	ds_write_b128 v25, v[41:44] offset:112
	v_add_f64 v[41:42], v[53:54], -v[82:83]
	v_add_f64 v[43:44], v[55:56], -v[31:32]
	v_mad_u32_u24 v25, v33, s0, 0
	v_fma_f64 v[49:50], v[49:50], 2.0, -v[45:46]
	v_fma_f64 v[51:52], v[51:52], 2.0, -v[47:48]
	v_add3_u32 v25, v25, v90, v26
	ds_write_b128 v25, v[20:23]
	ds_write_b128 v25, v[61:64] offset:112
	v_mad_u32_u24 v25, v91, s0, 0
	v_fma_f64 v[20:21], v[53:54], 2.0, -v[41:42]
	v_fma_f64 v[22:23], v[55:56], 2.0, -v[43:44]
	v_add3_u32 v25, v25, v92, v26
	ds_write_b128 v25, v[45:48] offset:112
	ds_write_b128 v25, v[49:52]
	v_add_f64 v[49:50], v[57:58], -v[75:76]
	v_add_f64 v[51:52], v[59:60], -v[77:78]
	v_mad_u32_u24 v25, v93, s0, 0
	v_add3_u32 v25, v25, v94, v26
	ds_write_b128 v25, v[20:23]
	v_add_f64 v[20:21], v[65:66], -v[27:28]
	v_add_f64 v[22:23], v[67:68], -v[86:87]
	;; [unrolled: 1-line block ×3, first 2 shown]
	v_fma_f64 v[45:46], v[57:58], 2.0, -v[49:50]
	v_fma_f64 v[47:48], v[59:60], 2.0, -v[51:52]
	v_add_f64 v[55:56], v[71:72], -v[88:89]
	ds_write_b128 v25, v[41:44] offset:112
	v_mad_u32_u24 v25, v95, s0, 0
	v_fma_f64 v[41:42], v[65:66], 2.0, -v[20:21]
	v_fma_f64 v[43:44], v[67:68], 2.0, -v[22:23]
	v_add3_u32 v25, v25, v96, v26
	ds_write_b128 v25, v[49:52] offset:112
	ds_write_b128 v25, v[45:48]
	v_fma_f64 v[45:46], v[69:70], 2.0, -v[53:54]
	v_fma_f64 v[47:48], v[71:72], 2.0, -v[55:56]
	v_mad_u32_u24 v25, v97, s0, 0
	v_add3_u32 v25, v25, v98, v26
	ds_write_b128 v25, v[41:44]
	ds_write_b128 v25, v[20:23] offset:112
	v_mad_u32_u24 v20, v99, s0, 0
	v_add3_u32 v20, v20, v100, v26
	ds_write_b128 v20, v[45:48]
	ds_write_b128 v20, v[53:56] offset:112
	v_add_u32_e32 v20, -14, v10
	v_cmp_gt_u32_e64 s[0:1], 14, v10
	v_mov_b32_e32 v25, 1
	v_cndmask_b32_e64 v22, v20, v10, s[0:1]
	v_mov_b32_e32 v23, 0
	v_lshrrev_b16_sdwa v27, v25, v14 dst_sel:DWORD dst_unused:UNUSED_PAD src0_sel:DWORD src1_sel:BYTE_0
	v_lshlrev_b64 v[20:21], 4, v[22:23]
	v_mul_lo_u16_e32 v27, 0x93, v27
	v_lshrrev_b16_e32 v29, 10, v27
	v_mov_b32_e32 v31, s13
	v_add_co_u32_e64 v20, s[0:1], s12, v20
	v_mul_lo_u16_e32 v27, 14, v29
	v_addc_co_u32_e64 v21, s[0:1], v31, v21, s[0:1]
	v_sub_u16_e32 v27, v14, v27
	s_waitcnt lgkmcnt(0)
	; wave barrier
	s_waitcnt lgkmcnt(0)
	v_lshlrev_b32_sdwa v97, v24, v27 dst_sel:DWORD dst_unused:UNUSED_PAD src0_sel:DWORD src1_sel:BYTE_0
	global_load_dwordx4 v[41:44], v[20:21], off offset:112
	global_load_dwordx4 v[45:48], v97, s[12:13] offset:112
	v_lshrrev_b16_sdwa v20, v25, v18 dst_sel:DWORD dst_unused:UNUSED_PAD src0_sel:DWORD src1_sel:BYTE_0
	v_mul_lo_u16_e32 v20, 0x93, v20
	v_lshrrev_b16_e32 v98, 10, v20
	v_mul_lo_u16_e32 v20, 14, v98
	v_sub_u16_e32 v20, v18, v20
	v_lshlrev_b32_sdwa v99, v24, v20 dst_sel:DWORD dst_unused:UNUSED_PAD src0_sel:DWORD src1_sel:BYTE_0
	v_lshrrev_b16_sdwa v20, v25, v16 dst_sel:DWORD dst_unused:UNUSED_PAD src0_sel:DWORD src1_sel:BYTE_0
	v_mul_lo_u16_e32 v20, 0x93, v20
	v_lshrrev_b16_e32 v100, 10, v20
	v_mul_lo_u16_e32 v20, 14, v100
	v_sub_u16_e32 v20, v16, v20
	v_lshlrev_b32_sdwa v101, v24, v20 dst_sel:DWORD dst_unused:UNUSED_PAD src0_sel:DWORD src1_sel:BYTE_0
	v_lshrrev_b16_sdwa v20, v25, v5 dst_sel:DWORD dst_unused:UNUSED_PAD src0_sel:DWORD src1_sel:BYTE_0
	v_mul_lo_u16_e32 v20, 0x93, v20
	v_lshrrev_b16_e32 v102, 10, v20
	v_mul_lo_u16_e32 v20, 14, v102
	global_load_dwordx4 v[49:52], v99, s[12:13] offset:112
	global_load_dwordx4 v[53:56], v101, s[12:13] offset:112
	v_sub_u16_e32 v20, v5, v20
	v_lshlrev_b32_sdwa v103, v24, v20 dst_sel:DWORD dst_unused:UNUSED_PAD src0_sel:DWORD src1_sel:BYTE_0
	v_lshrrev_b16_sdwa v20, v25, v3 dst_sel:DWORD dst_unused:UNUSED_PAD src0_sel:DWORD src1_sel:BYTE_0
	v_mul_lo_u16_e32 v20, 0x93, v20
	v_lshrrev_b16_e32 v104, 10, v20
	v_mul_lo_u16_e32 v20, 14, v104
	v_sub_u16_e32 v20, v3, v20
	v_lshlrev_b32_sdwa v105, v24, v20 dst_sel:DWORD dst_unused:UNUSED_PAD src0_sel:DWORD src1_sel:BYTE_0
	v_lshrrev_b16_sdwa v20, v25, v1 dst_sel:DWORD dst_unused:UNUSED_PAD src0_sel:DWORD src1_sel:BYTE_0
	v_mul_lo_u16_e32 v20, 0x93, v20
	v_lshrrev_b16_e32 v25, 10, v20
	global_load_dwordx4 v[57:60], v103, s[12:13] offset:112
	global_load_dwordx4 v[61:64], v105, s[12:13] offset:112
	v_mul_lo_u16_e32 v20, 14, v25
	v_sub_u16_e32 v20, v1, v20
	v_lshlrev_b32_sdwa v106, v24, v20 dst_sel:DWORD dst_unused:UNUSED_PAD src0_sel:DWORD src1_sel:BYTE_0
	global_load_dwordx4 v[65:68], v106, s[12:13] offset:112
	ds_read_b128 v[69:72], v7 offset:1792
	ds_read_b128 v[73:76], v7 offset:2048
	ds_read_b128 v[77:80], v35
	ds_read_b128 v[81:84], v7 offset:2304
	ds_read_b128 v[85:88], v7 offset:2560
	;; [unrolled: 1-line block ×3, first 2 shown]
	v_cmp_lt_u32_e64 s[0:1], 13, v10
	v_lshlrev_b32_e32 v22, 4, v22
	v_lshlrev_b64 v[18:19], 4, v[18:19]
	s_waitcnt vmcnt(6) lgkmcnt(5)
	v_mul_f64 v[20:21], v[71:72], v[43:44]
	v_mul_f64 v[27:28], v[69:70], v[43:44]
	s_waitcnt vmcnt(5) lgkmcnt(4)
	v_mul_f64 v[43:44], v[73:74], v[47:48]
	v_mul_f64 v[32:33], v[75:76], v[47:48]
	v_fma_f64 v[20:21], v[69:70], v[41:42], -v[20:21]
	v_fma_f64 v[27:28], v[71:72], v[41:42], v[27:28]
	v_fma_f64 v[75:76], v[75:76], v[45:46], v[43:44]
	ds_read_b128 v[41:44], v7 offset:3072
	v_fma_f64 v[32:33], v[73:74], v[45:46], -v[32:33]
	s_waitcnt vmcnt(4) lgkmcnt(3)
	v_mul_f64 v[47:48], v[83:84], v[51:52]
	v_mul_f64 v[51:52], v[81:82], v[51:52]
	s_waitcnt vmcnt(3) lgkmcnt(2)
	v_mul_f64 v[93:94], v[87:88], v[55:56]
	v_mul_f64 v[55:56], v[85:86], v[55:56]
	v_fma_f64 v[81:82], v[81:82], v[49:50], -v[47:48]
	ds_read_b128 v[45:48], v7 offset:3328
	v_fma_f64 v[83:84], v[83:84], v[49:50], v[51:52]
	v_fma_f64 v[85:86], v[85:86], v[53:54], -v[93:94]
	v_fma_f64 v[87:88], v[87:88], v[53:54], v[55:56]
	s_waitcnt vmcnt(2) lgkmcnt(2)
	v_mul_f64 v[53:54], v[91:92], v[59:60]
	v_mul_f64 v[55:56], v[89:90], v[59:60]
	s_waitcnt vmcnt(1) lgkmcnt(1)
	v_mul_f64 v[59:60], v[43:44], v[63:64]
	v_mul_f64 v[63:64], v[41:42], v[63:64]
	v_add_f64 v[49:50], v[77:78], -v[20:21]
	v_add_f64 v[51:52], v[79:80], -v[27:28]
	s_waitcnt vmcnt(0) lgkmcnt(0)
	v_mul_f64 v[69:70], v[47:48], v[67:68]
	v_mul_f64 v[67:68], v[45:46], v[67:68]
	v_fma_f64 v[20:21], v[89:90], v[57:58], -v[53:54]
	v_fma_f64 v[27:28], v[91:92], v[57:58], v[55:56]
	v_fma_f64 v[89:90], v[41:42], v[61:62], -v[59:60]
	v_fma_f64 v[91:92], v[43:44], v[61:62], v[63:64]
	v_fma_f64 v[41:42], v[77:78], 2.0, -v[49:50]
	v_fma_f64 v[43:44], v[79:80], 2.0, -v[51:52]
	v_fma_f64 v[93:94], v[45:46], v[65:66], -v[69:70]
	v_mov_b32_e32 v45, 0x1c0
	v_cndmask_b32_e64 v45, 0, v45, s[0:1]
	v_add_u32_e32 v45, 0, v45
	v_fma_f64 v[95:96], v[47:48], v[65:66], v[67:68]
	v_add3_u32 v22, v45, v22, v26
	ds_read_b128 v[45:48], v30
	ds_read_b128 v[53:56], v40
	;; [unrolled: 1-line block ×6, first 2 shown]
	s_waitcnt lgkmcnt(5)
	v_add_f64 v[73:74], v[45:46], -v[32:33]
	v_add_f64 v[75:76], v[47:48], -v[75:76]
	s_waitcnt lgkmcnt(0)
	; wave barrier
	s_waitcnt lgkmcnt(0)
	ds_write_b128 v22, v[41:44]
	ds_write_b128 v22, v[49:52] offset:224
	v_add_f64 v[41:42], v[53:54], -v[81:82]
	v_add_f64 v[43:44], v[55:56], -v[83:84]
	;; [unrolled: 1-line block ×3, first 2 shown]
	v_fma_f64 v[45:46], v[45:46], 2.0, -v[73:74]
	v_fma_f64 v[47:48], v[47:48], 2.0, -v[75:76]
	v_add_f64 v[51:52], v[59:60], -v[87:88]
	s_movk_i32 s0, 0x1c0
	v_mad_u32_u24 v22, v29, s0, 0
	v_fma_f64 v[53:54], v[53:54], 2.0, -v[41:42]
	v_fma_f64 v[55:56], v[55:56], 2.0, -v[43:44]
	v_add3_u32 v22, v22, v97, v26
	ds_write_b128 v22, v[45:48]
	ds_write_b128 v22, v[73:76] offset:224
	v_mad_u32_u24 v22, v98, s0, 0
	v_add3_u32 v22, v22, v99, v26
	v_fma_f64 v[45:46], v[57:58], 2.0, -v[49:50]
	v_fma_f64 v[47:48], v[59:60], 2.0, -v[51:52]
	ds_write_b128 v22, v[53:56]
	v_add_f64 v[53:54], v[61:62], -v[20:21]
	v_add_f64 v[55:56], v[63:64], -v[27:28]
	ds_write_b128 v22, v[41:44] offset:224
	v_mad_u32_u24 v20, v100, s0, 0
	v_add_f64 v[41:42], v[65:66], -v[89:90]
	v_add_f64 v[43:44], v[67:68], -v[91:92]
	v_add3_u32 v20, v20, v101, v26
	ds_write_b128 v20, v[45:48]
	v_fma_f64 v[45:46], v[61:62], 2.0, -v[53:54]
	v_fma_f64 v[47:48], v[63:64], 2.0, -v[55:56]
	v_add_f64 v[57:58], v[69:70], -v[93:94]
	v_add_f64 v[59:60], v[71:72], -v[95:96]
	ds_write_b128 v20, v[49:52] offset:224
	v_mad_u32_u24 v20, v102, s0, 0
	v_fma_f64 v[49:50], v[65:66], 2.0, -v[41:42]
	v_fma_f64 v[51:52], v[67:68], 2.0, -v[43:44]
	v_add3_u32 v20, v20, v103, v26
	ds_write_b128 v20, v[45:48]
	v_fma_f64 v[45:46], v[69:70], 2.0, -v[57:58]
	v_fma_f64 v[47:48], v[71:72], 2.0, -v[59:60]
	ds_write_b128 v20, v[53:56] offset:224
	v_mad_u32_u24 v20, v104, s0, 0
	v_add3_u32 v20, v20, v105, v26
	ds_write_b128 v20, v[49:52]
	ds_write_b128 v20, v[41:44] offset:224
	v_mad_u32_u24 v20, v25, s0, 0
	v_add3_u32 v20, v20, v106, v26
	ds_write_b128 v20, v[45:48]
	ds_write_b128 v20, v[57:60] offset:224
	v_lshlrev_b64 v[20:21], 4, v[10:11]
	s_waitcnt lgkmcnt(0)
	v_add_co_u32_e64 v20, s[0:1], s12, v20
	v_addc_co_u32_e64 v21, s[0:1], v31, v21, s[0:1]
	; wave barrier
	global_load_dwordx4 v[41:44], v[20:21], off offset:336
	global_load_dwordx4 v[45:48], v[20:21], off offset:400
	v_add_u32_e32 v11, -12, v10
	v_cmp_gt_u32_e64 s[0:1], 28, v14
	v_cndmask_b32_e64 v22, v11, v14, s[0:1]
	v_lshlrev_b64 v[27:28], 4, v[22:23]
	v_mov_b32_e32 v11, 2
	v_lshrrev_b16_sdwa v25, v11, v16 dst_sel:DWORD dst_unused:UNUSED_PAD src0_sel:DWORD src1_sel:BYTE_0
	v_add_co_u32_e64 v27, s[0:1], s12, v27
	v_mul_lo_u16_e32 v25, 37, v25
	v_addc_co_u32_e64 v28, s[0:1], v31, v28, s[0:1]
	v_lshrrev_b16_e32 v29, 8, v25
	v_mul_lo_u16_e32 v25, 28, v29
	global_load_dwordx4 v[49:52], v[27:28], off offset:336
	v_sub_u16_e32 v25, v16, v25
	v_lshlrev_b32_sdwa v93, v24, v25 dst_sel:DWORD dst_unused:UNUSED_PAD src0_sel:DWORD src1_sel:BYTE_0
	global_load_dwordx4 v[53:56], v93, s[12:13] offset:336
	v_lshrrev_b16_sdwa v25, v11, v5 dst_sel:DWORD dst_unused:UNUSED_PAD src0_sel:DWORD src1_sel:BYTE_0
	v_mul_lo_u16_e32 v25, 37, v25
	v_mov_b32_e32 v27, 28
	v_mul_lo_u16_sdwa v25, v25, v27 dst_sel:DWORD dst_unused:UNUSED_PAD src0_sel:BYTE_1 src1_sel:DWORD
	v_sub_u16_e32 v25, v5, v25
	v_lshlrev_b32_sdwa v94, v24, v25 dst_sel:DWORD dst_unused:UNUSED_PAD src0_sel:DWORD src1_sel:BYTE_0
	global_load_dwordx4 v[57:60], v94, s[12:13] offset:336
	v_lshrrev_b16_sdwa v25, v11, v3 dst_sel:DWORD dst_unused:UNUSED_PAD src0_sel:DWORD src1_sel:BYTE_0
	v_mul_lo_u16_e32 v25, 37, v25
	v_lshrrev_b16_sdwa v11, v11, v1 dst_sel:DWORD dst_unused:UNUSED_PAD src0_sel:DWORD src1_sel:BYTE_0
	v_lshrrev_b16_e32 v95, 8, v25
	v_mul_lo_u16_e32 v11, 37, v11
	v_mul_lo_u16_e32 v25, 28, v95
	v_mul_lo_u16_sdwa v11, v11, v27 dst_sel:DWORD dst_unused:UNUSED_PAD src0_sel:BYTE_1 src1_sel:DWORD
	v_sub_u16_e32 v25, v3, v25
	v_sub_u16_e32 v11, v1, v11
	v_lshlrev_b32_sdwa v96, v24, v25 dst_sel:DWORD dst_unused:UNUSED_PAD src0_sel:DWORD src1_sel:BYTE_0
	global_load_dwordx4 v[61:64], v96, s[12:13] offset:336
	v_lshlrev_b32_sdwa v11, v24, v11 dst_sel:DWORD dst_unused:UNUSED_PAD src0_sel:DWORD src1_sel:BYTE_0
	global_load_dwordx4 v[65:68], v11, s[12:13] offset:336
	ds_read_b128 v[69:72], v7 offset:1792
	ds_read_b128 v[73:76], v7 offset:2048
	;; [unrolled: 1-line block ×4, first 2 shown]
	v_cmp_lt_u32_e64 s[0:1], 27, v14
	v_lshlrev_b32_e32 v22, 4, v22
	v_add_u32_e32 v11, v34, v11
	v_lshlrev_b64 v[5:6], 4, v[5:6]
	v_lshlrev_b64 v[3:4], 4, v[3:4]
	;; [unrolled: 1-line block ×3, first 2 shown]
	s_waitcnt vmcnt(6) lgkmcnt(3)
	v_mul_f64 v[24:25], v[71:72], v[43:44]
	v_mul_f64 v[27:28], v[69:70], v[43:44]
	v_fma_f64 v[24:25], v[69:70], v[41:42], -v[24:25]
	v_fma_f64 v[27:28], v[71:72], v[41:42], v[27:28]
	ds_read_b128 v[41:44], v7 offset:2560
	s_waitcnt vmcnt(5) lgkmcnt(2)
	v_mul_f64 v[85:86], v[79:80], v[47:48]
	ds_read_b128 v[69:72], v7 offset:2816
	v_mul_f64 v[47:48], v[77:78], v[47:48]
	s_waitcnt vmcnt(4)
	v_mul_f64 v[32:33], v[75:76], v[51:52]
	v_mul_f64 v[51:52], v[73:74], v[51:52]
	s_waitcnt vmcnt(3) lgkmcnt(1)
	v_mul_f64 v[87:88], v[43:44], v[55:56]
	v_mul_f64 v[55:56], v[41:42], v[55:56]
	v_fma_f64 v[77:78], v[77:78], v[45:46], -v[85:86]
	v_fma_f64 v[79:80], v[79:80], v[45:46], v[47:48]
	ds_read_b128 v[45:48], v35
	v_fma_f64 v[32:33], v[73:74], v[49:50], -v[32:33]
	v_fma_f64 v[73:74], v[75:76], v[49:50], v[51:52]
	s_waitcnt vmcnt(2) lgkmcnt(1)
	v_mul_f64 v[89:90], v[71:72], v[59:60]
	v_mul_f64 v[59:60], v[69:70], v[59:60]
	v_fma_f64 v[85:86], v[41:42], v[53:54], -v[87:88]
	v_fma_f64 v[87:88], v[43:44], v[53:54], v[55:56]
	ds_read_b128 v[41:44], v7 offset:3328
	ds_read_b128 v[49:52], v30
	s_waitcnt lgkmcnt(2)
	v_add_f64 v[53:54], v[45:46], -v[24:25]
	v_add_f64 v[55:56], v[47:48], -v[27:28]
	v_fma_f64 v[89:90], v[69:70], v[57:58], -v[89:90]
	v_fma_f64 v[91:92], v[71:72], v[57:58], v[59:60]
	s_waitcnt lgkmcnt(0)
	v_add_f64 v[57:58], v[49:50], -v[32:33]
	s_waitcnt vmcnt(1)
	v_mul_f64 v[69:70], v[83:84], v[63:64]
	v_mul_f64 v[63:64], v[81:82], v[63:64]
	s_waitcnt vmcnt(0)
	v_mul_f64 v[71:72], v[43:44], v[67:68]
	v_mul_f64 v[67:68], v[41:42], v[67:68]
	v_add_f64 v[59:60], v[51:52], -v[73:74]
	v_fma_f64 v[24:25], v[81:82], v[61:62], -v[69:70]
	v_fma_f64 v[27:28], v[83:84], v[61:62], v[63:64]
	v_fma_f64 v[32:33], v[41:42], v[65:66], -v[71:72]
	v_fma_f64 v[81:82], v[43:44], v[65:66], v[67:68]
	v_fma_f64 v[41:42], v[45:46], 2.0, -v[53:54]
	v_fma_f64 v[43:44], v[47:48], 2.0, -v[55:56]
	;; [unrolled: 1-line block ×4, first 2 shown]
	ds_read_b128 v[49:52], v40
	ds_read_b128 v[61:64], v39
	;; [unrolled: 1-line block ×5, first 2 shown]
	s_waitcnt lgkmcnt(4)
	v_add_f64 v[77:78], v[49:50], -v[77:78]
	v_add_f64 v[79:80], v[51:52], -v[79:80]
	s_waitcnt lgkmcnt(0)
	; wave barrier
	s_waitcnt lgkmcnt(0)
	ds_write_b128 v7, v[41:44]
	v_mov_b32_e32 v41, 0x380
	v_cndmask_b32_e64 v83, 0, v41, s[0:1]
	ds_write_b128 v7, v[53:56] offset:448
	v_fma_f64 v[41:42], v[49:50], 2.0, -v[77:78]
	v_fma_f64 v[43:44], v[51:52], 2.0, -v[79:80]
	v_add_f64 v[53:54], v[61:62], -v[85:86]
	v_add_f64 v[55:56], v[63:64], -v[87:88]
	v_add_u32_e32 v49, 0, v83
	v_add3_u32 v22, v49, v22, v26
	ds_write_b128 v22, v[45:48]
	ds_write_b128 v22, v[57:60] offset:448
	v_add_f64 v[49:50], v[69:70], -v[24:25]
	v_add_f64 v[51:52], v[71:72], -v[27:28]
	ds_write_b128 v7, v[41:44] offset:960
	v_add_f64 v[41:42], v[65:66], -v[89:90]
	v_add_f64 v[43:44], v[67:68], -v[91:92]
	v_fma_f64 v[45:46], v[61:62], 2.0, -v[53:54]
	v_fma_f64 v[47:48], v[63:64], 2.0, -v[55:56]
	v_add_f64 v[61:62], v[73:74], -v[32:33]
	v_add_f64 v[63:64], v[75:76], -v[81:82]
	s_movk_i32 s0, 0x380
	v_mad_u32_u24 v22, v29, s0, 0
	v_fma_f64 v[57:58], v[65:66], 2.0, -v[41:42]
	v_fma_f64 v[59:60], v[67:68], 2.0, -v[43:44]
	v_add3_u32 v22, v22, v93, v26
	ds_write_b128 v7, v[77:80] offset:1408
	ds_write_b128 v22, v[45:48]
	ds_write_b128 v22, v[53:56] offset:448
	v_fma_f64 v[45:46], v[69:70], 2.0, -v[49:50]
	v_fma_f64 v[47:48], v[71:72], 2.0, -v[51:52]
	;; [unrolled: 1-line block ×4, first 2 shown]
	v_lshlrev_b64 v[24:25], 4, v[14:15]
	v_add_u32_e32 v22, v34, v94
	ds_write_b128 v22, v[57:60] offset:1792
	ds_write_b128 v22, v[41:44] offset:2240
	v_mad_u32_u24 v22, v95, s0, 0
	v_add_co_u32_e64 v24, s[0:1], s12, v24
	v_add3_u32 v22, v22, v96, v26
	v_addc_co_u32_e64 v25, s[0:1], v31, v25, s[0:1]
	ds_write_b128 v22, v[45:48]
	ds_write_b128 v22, v[49:52] offset:448
	ds_write_b128 v11, v[53:56] offset:2688
	;; [unrolled: 1-line block ×3, first 2 shown]
	s_waitcnt lgkmcnt(0)
	; wave barrier
	s_waitcnt lgkmcnt(0)
	global_load_dwordx4 v[41:44], v[20:21], off offset:784
	v_add_co_u32_e64 v18, s[0:1], s12, v18
	v_addc_co_u32_e64 v19, s[0:1], v31, v19, s[0:1]
	global_load_dwordx4 v[45:48], v[24:25], off offset:784
	global_load_dwordx4 v[49:52], v[18:19], off offset:784
	v_add_u32_e32 v11, -8, v10
	v_cmp_gt_u32_e64 s[0:1], 56, v16
	v_cndmask_b32_e64 v22, v11, v16, s[0:1]
	v_lshlrev_b64 v[27:28], 4, v[22:23]
	v_mov_b32_e32 v15, 0x700
	v_add_co_u32_e64 v27, s[0:1], s12, v27
	v_addc_co_u32_e64 v28, s[0:1], v31, v28, s[0:1]
	global_load_dwordx4 v[53:56], v[27:28], off offset:784
	global_load_dwordx4 v[57:60], v[20:21], off offset:912
	;; [unrolled: 1-line block ×4, first 2 shown]
	ds_read_b128 v[69:72], v7 offset:1792
	ds_read_b128 v[73:76], v7 offset:2048
	;; [unrolled: 1-line block ×4, first 2 shown]
	v_cmp_lt_u32_e64 s[0:1], 55, v16
	v_cndmask_b32_e64 v15, 0, v15, s[0:1]
	v_lshlrev_b32_e32 v11, 4, v22
	v_add_u32_e32 v15, 0, v15
	v_add3_u32 v11, v15, v11, v26
	v_lshlrev_b64 v[15:16], 4, v[16:17]
	s_waitcnt vmcnt(6) lgkmcnt(3)
	v_mul_f64 v[27:28], v[71:72], v[43:44]
	v_mul_f64 v[32:33], v[69:70], v[43:44]
	s_waitcnt vmcnt(5) lgkmcnt(2)
	v_mul_f64 v[43:44], v[75:76], v[47:48]
	s_waitcnt vmcnt(4) lgkmcnt(1)
	v_mul_f64 v[85:86], v[79:80], v[51:52]
	v_mul_f64 v[51:52], v[77:78], v[51:52]
	;; [unrolled: 1-line block ×3, first 2 shown]
	v_fma_f64 v[27:28], v[69:70], v[41:42], -v[27:28]
	v_fma_f64 v[32:33], v[71:72], v[41:42], v[32:33]
	v_fma_f64 v[73:74], v[73:74], v[45:46], -v[43:44]
	ds_read_b128 v[41:44], v7 offset:2816
	s_waitcnt vmcnt(3) lgkmcnt(1)
	v_mul_f64 v[69:70], v[83:84], v[55:56]
	v_fma_f64 v[77:78], v[77:78], v[49:50], -v[85:86]
	v_fma_f64 v[79:80], v[79:80], v[49:50], v[51:52]
	ds_read_b128 v[49:52], v7 offset:3328
	v_fma_f64 v[75:76], v[75:76], v[45:46], v[47:48]
	ds_read_b128 v[45:48], v7 offset:3072
	s_waitcnt vmcnt(2) lgkmcnt(2)
	v_mul_f64 v[85:86], v[43:44], v[59:60]
	v_mul_f64 v[59:60], v[41:42], v[59:60]
	v_mul_f64 v[55:56], v[81:82], v[55:56]
	v_fma_f64 v[81:82], v[81:82], v[53:54], -v[69:70]
	ds_read_b128 v[69:72], v30
	s_waitcnt vmcnt(0) lgkmcnt(2)
	v_mul_f64 v[89:90], v[51:52], v[67:68]
	v_mul_f64 v[67:68], v[49:50], v[67:68]
	s_waitcnt lgkmcnt(1)
	v_mul_f64 v[87:88], v[47:48], v[63:64]
	v_mul_f64 v[63:64], v[45:46], v[63:64]
	v_fma_f64 v[85:86], v[41:42], v[57:58], -v[85:86]
	v_fma_f64 v[91:92], v[43:44], v[57:58], v[59:60]
	ds_read_b128 v[41:44], v35
	v_fma_f64 v[83:84], v[83:84], v[53:54], v[55:56]
	ds_read_b128 v[53:56], v39
	v_fma_f64 v[89:90], v[49:50], v[65:66], -v[89:90]
	v_fma_f64 v[95:96], v[51:52], v[65:66], v[67:68]
	ds_read_b128 v[49:52], v40
	v_fma_f64 v[87:88], v[45:46], v[61:62], -v[87:88]
	v_fma_f64 v[93:94], v[47:48], v[61:62], v[63:64]
	s_waitcnt lgkmcnt(2)
	v_add_f64 v[45:46], v[41:42], -v[27:28]
	v_add_f64 v[47:48], v[43:44], -v[32:33]
	;; [unrolled: 1-line block ×4, first 2 shown]
	s_waitcnt lgkmcnt(0)
	v_add_f64 v[61:62], v[49:50], -v[77:78]
	v_add_f64 v[63:64], v[51:52], -v[79:80]
	;; [unrolled: 1-line block ×4, first 2 shown]
	v_fma_f64 v[41:42], v[41:42], 2.0, -v[45:46]
	v_fma_f64 v[43:44], v[43:44], 2.0, -v[47:48]
	;; [unrolled: 1-line block ×6, first 2 shown]
	ds_read_b128 v[73:76], v38
	ds_read_b128 v[77:80], v37
	;; [unrolled: 1-line block ×3, first 2 shown]
	s_waitcnt lgkmcnt(0)
	; wave barrier
	s_waitcnt lgkmcnt(0)
	ds_write_b128 v7, v[41:44]
	ds_write_b128 v7, v[45:48] offset:896
	ds_write_b128 v30, v[69:72]
	ds_write_b128 v30, v[57:60] offset:896
	;; [unrolled: 2-line block ×3, first 2 shown]
	v_add_f64 v[41:42], v[73:74], -v[85:86]
	v_add_f64 v[43:44], v[75:76], -v[91:92]
	;; [unrolled: 1-line block ×6, first 2 shown]
	v_fma_f64 v[53:54], v[53:54], 2.0, -v[65:66]
	v_fma_f64 v[55:56], v[55:56], 2.0, -v[67:68]
	;; [unrolled: 1-line block ×8, first 2 shown]
	ds_write_b128 v11, v[53:56]
	ds_write_b128 v11, v[65:68] offset:896
	ds_write_b128 v7, v[57:60] offset:1920
	;; [unrolled: 1-line block ×7, first 2 shown]
	s_waitcnt lgkmcnt(0)
	; wave barrier
	s_waitcnt lgkmcnt(0)
	global_load_dwordx4 v[41:44], v[20:21], off offset:1680
	global_load_dwordx4 v[45:48], v[24:25], off offset:1680
	;; [unrolled: 1-line block ×3, first 2 shown]
	v_add_co_u32_e64 v28, s[0:1], s12, v15
	v_addc_co_u32_e64 v29, s[0:1], v31, v16, s[0:1]
	global_load_dwordx4 v[53:56], v[28:29], off offset:1680
	v_add_co_u32_e64 v26, s[0:1], s12, v5
	v_addc_co_u32_e64 v27, s[0:1], v31, v6, s[0:1]
	v_add_co_u32_e64 v22, s[0:1], s12, v3
	v_addc_co_u32_e64 v23, s[0:1], v31, v4, s[0:1]
	global_load_dwordx4 v[3:6], v[26:27], off offset:1680
	global_load_dwordx4 v[57:60], v[22:23], off offset:1680
	v_add_co_u32_e64 v15, s[0:1], s12, v1
	v_addc_co_u32_e64 v16, s[0:1], v31, v2, s[0:1]
	global_load_dwordx4 v[61:64], v[15:16], off offset:1680
	ds_read_b128 v[65:68], v7 offset:1792
	ds_read_b128 v[69:72], v7 offset:2048
	;; [unrolled: 1-line block ×4, first 2 shown]
	v_sub_u32_e32 v11, v34, v0
	v_cmp_ne_u32_e64 s[0:1], 0, v10
	s_waitcnt vmcnt(6) lgkmcnt(3)
	v_mul_f64 v[1:2], v[67:68], v[43:44]
	v_mul_f64 v[31:32], v[65:66], v[43:44]
	s_waitcnt vmcnt(5) lgkmcnt(2)
	v_mul_f64 v[43:44], v[71:72], v[47:48]
	v_mul_f64 v[47:48], v[69:70], v[47:48]
	;; [unrolled: 3-line block ×3, first 2 shown]
	v_fma_f64 v[1:2], v[65:66], v[41:42], -v[1:2]
	v_fma_f64 v[31:32], v[67:68], v[41:42], v[31:32]
	v_fma_f64 v[69:70], v[69:70], v[45:46], -v[43:44]
	ds_read_b128 v[41:44], v7 offset:2816
	s_waitcnt vmcnt(3) lgkmcnt(1)
	v_mul_f64 v[65:66], v[79:80], v[55:56]
	v_mul_f64 v[55:56], v[77:78], v[55:56]
	v_fma_f64 v[71:72], v[71:72], v[45:46], v[47:48]
	ds_read_b128 v[45:48], v7 offset:3072
	v_fma_f64 v[73:74], v[73:74], v[49:50], -v[81:82]
	s_waitcnt vmcnt(2) lgkmcnt(1)
	v_mul_f64 v[81:82], v[43:44], v[5:6]
	v_mul_f64 v[5:6], v[41:42], v[5:6]
	v_fma_f64 v[75:76], v[75:76], v[49:50], v[51:52]
	v_fma_f64 v[77:78], v[77:78], v[53:54], -v[65:66]
	v_fma_f64 v[79:80], v[79:80], v[53:54], v[55:56]
	ds_read_b128 v[49:52], v7 offset:3328
	ds_read_b128 v[53:56], v35
	ds_read_b128 v[65:68], v30
	s_waitcnt vmcnt(1) lgkmcnt(3)
	v_mul_f64 v[83:84], v[47:48], v[59:60]
	v_mul_f64 v[59:60], v[45:46], v[59:60]
	v_fma_f64 v[81:82], v[41:42], v[3:4], -v[81:82]
	v_fma_f64 v[5:6], v[43:44], v[3:4], v[5:6]
	s_waitcnt lgkmcnt(1)
	v_add_f64 v[1:2], v[53:54], -v[1:2]
	v_add_f64 v[3:4], v[55:56], -v[31:32]
	s_waitcnt lgkmcnt(0)
	v_add_f64 v[41:42], v[65:66], -v[69:70]
	v_add_f64 v[43:44], v[67:68], -v[71:72]
	s_waitcnt vmcnt(0)
	v_mul_f64 v[85:86], v[51:52], v[63:64]
	v_mul_f64 v[63:64], v[49:50], v[63:64]
	v_fma_f64 v[83:84], v[45:46], v[57:58], -v[83:84]
	v_fma_f64 v[87:88], v[47:48], v[57:58], v[59:60]
	v_fma_f64 v[45:46], v[53:54], 2.0, -v[1:2]
	v_fma_f64 v[47:48], v[55:56], 2.0, -v[3:4]
	;; [unrolled: 1-line block ×4, first 2 shown]
	v_fma_f64 v[85:86], v[49:50], v[61:62], -v[85:86]
	v_fma_f64 v[89:90], v[51:52], v[61:62], v[63:64]
	ds_read_b128 v[49:52], v40
	ds_read_b128 v[53:56], v39
	;; [unrolled: 1-line block ×5, first 2 shown]
	s_waitcnt lgkmcnt(4)
	v_add_f64 v[73:74], v[49:50], -v[73:74]
	v_add_f64 v[75:76], v[51:52], -v[75:76]
	s_waitcnt lgkmcnt(0)
	; wave barrier
	s_waitcnt lgkmcnt(0)
	ds_write_b128 v7, v[45:48]
	ds_write_b128 v7, v[1:4] offset:1792
	ds_write_b128 v30, v[65:68]
	ds_write_b128 v30, v[41:44] offset:1792
	v_add_f64 v[30:31], v[53:54], -v[77:78]
	v_add_f64 v[32:33], v[55:56], -v[79:80]
	;; [unrolled: 1-line block ×6, first 2 shown]
	v_fma_f64 v[1:2], v[49:50], 2.0, -v[73:74]
	v_fma_f64 v[3:4], v[51:52], 2.0, -v[75:76]
	v_add_f64 v[49:50], v[69:70], -v[85:86]
	v_add_f64 v[51:52], v[71:72], -v[89:90]
	v_fma_f64 v[53:54], v[53:54], 2.0, -v[30:31]
	v_fma_f64 v[55:56], v[55:56], 2.0, -v[32:33]
	;; [unrolled: 1-line block ×8, first 2 shown]
	ds_write_b128 v40, v[1:4]
	ds_write_b128 v40, v[73:76] offset:1792
	ds_write_b128 v39, v[53:56]
	ds_write_b128 v39, v[30:33] offset:1792
	ds_write_b128 v38, v[57:60]
	ds_write_b128 v38, v[41:44] offset:1792
	ds_write_b128 v37, v[61:64]
	ds_write_b128 v37, v[45:48] offset:1792
	ds_write_b128 v36, v[65:68]
	ds_write_b128 v36, v[49:52] offset:1792
	s_waitcnt lgkmcnt(0)
	; wave barrier
	s_waitcnt lgkmcnt(0)
	ds_read_b128 v[4:7], v35
                                        ; implicit-def: $vgpr0_vgpr1
                                        ; implicit-def: $vgpr30_vgpr31
                                        ; implicit-def: $vgpr32_vgpr33
	s_and_saveexec_b64 s[4:5], s[0:1]
	s_xor_b64 s[0:1], exec, s[4:5]
	s_cbranch_execz .LBB0_15
; %bb.14:
	global_load_dwordx4 v[41:44], v[20:21], off offset:3472
	ds_read_b128 v[0:3], v11 offset:3584
	s_waitcnt lgkmcnt(0)
	v_add_f64 v[20:21], v[4:5], -v[0:1]
	v_add_f64 v[30:31], v[6:7], v[2:3]
	v_add_f64 v[2:3], v[6:7], -v[2:3]
	v_add_f64 v[0:1], v[4:5], v[0:1]
	v_mul_f64 v[6:7], v[20:21], 0.5
	v_mul_f64 v[4:5], v[30:31], 0.5
	;; [unrolled: 1-line block ×3, first 2 shown]
	s_waitcnt vmcnt(0)
	v_mul_f64 v[20:21], v[6:7], v[43:44]
	v_fma_f64 v[30:31], v[4:5], v[43:44], v[2:3]
	v_fma_f64 v[2:3], v[4:5], v[43:44], -v[2:3]
	v_fma_f64 v[45:46], v[0:1], 0.5, v[20:21]
	v_fma_f64 v[0:1], v[0:1], 0.5, -v[20:21]
	v_fma_f64 v[32:33], -v[41:42], v[6:7], v[30:31]
	v_fma_f64 v[2:3], -v[41:42], v[6:7], v[2:3]
	v_fma_f64 v[30:31], v[4:5], v[41:42], v[45:46]
	v_fma_f64 v[0:1], -v[4:5], v[41:42], v[0:1]
                                        ; implicit-def: $vgpr4_vgpr5
.LBB0_15:
	s_andn2_saveexec_b64 s[0:1], s[0:1]
	s_cbranch_execz .LBB0_17
; %bb.16:
	s_waitcnt lgkmcnt(0)
	v_add_f64 v[30:31], v[4:5], v[6:7]
	ds_read_b64 v[2:3], v34 offset:1800
	v_add_f64 v[0:1], v[4:5], -v[6:7]
	v_mov_b32_e32 v32, 0
	v_mov_b32_e32 v33, 0
	s_waitcnt lgkmcnt(0)
	v_xor_b32_e32 v3, 0x80000000, v3
	ds_write_b64 v34, v[2:3] offset:1800
	v_mov_b32_e32 v2, v32
	v_mov_b32_e32 v3, v33
.LBB0_17:
	s_or_b64 exec, exec, s[0:1]
	s_waitcnt lgkmcnt(0)
	global_load_dwordx4 v[4:7], v[24:25], off offset:3472
	global_load_dwordx4 v[41:44], v[18:19], off offset:3472
	ds_write2_b64 v35, v[30:31], v[32:33] offset1:1
	ds_write_b128 v11, v[0:3] offset:3584
	v_lshl_add_u32 v14, v14, 4, v34
	ds_read_b128 v[0:3], v14
	ds_read_b128 v[17:20], v11 offset:3328
	s_waitcnt lgkmcnt(0)
	v_add_f64 v[24:25], v[0:1], -v[17:18]
	v_add_f64 v[30:31], v[2:3], v[19:20]
	v_add_f64 v[2:3], v[2:3], -v[19:20]
	v_add_f64 v[0:1], v[0:1], v[17:18]
	v_mul_f64 v[19:20], v[24:25], 0.5
	v_mul_f64 v[24:25], v[30:31], 0.5
	v_mul_f64 v[2:3], v[2:3], 0.5
	s_waitcnt vmcnt(1)
	v_mul_f64 v[17:18], v[19:20], v[6:7]
	v_fma_f64 v[30:31], v[24:25], v[6:7], v[2:3]
	v_fma_f64 v[6:7], v[24:25], v[6:7], -v[2:3]
	v_fma_f64 v[32:33], v[0:1], 0.5, v[17:18]
	v_fma_f64 v[17:18], v[0:1], 0.5, -v[17:18]
	global_load_dwordx4 v[0:3], v[28:29], off offset:3472
	v_fma_f64 v[28:29], -v[4:5], v[19:20], v[30:31]
	v_fma_f64 v[6:7], -v[4:5], v[19:20], v[6:7]
	v_fma_f64 v[19:20], v[24:25], v[4:5], v[32:33]
	v_fma_f64 v[4:5], -v[24:25], v[4:5], v[17:18]
	ds_write2_b64 v14, v[19:20], v[28:29] offset1:1
	ds_write_b128 v11, v[4:7] offset:3328
	ds_read_b128 v[4:7], v40
	ds_read_b128 v[17:20], v11 offset:3072
	s_waitcnt lgkmcnt(0)
	v_add_f64 v[24:25], v[4:5], -v[17:18]
	v_add_f64 v[28:29], v[6:7], v[19:20]
	v_add_f64 v[6:7], v[6:7], -v[19:20]
	v_add_f64 v[4:5], v[4:5], v[17:18]
	v_mul_f64 v[19:20], v[24:25], 0.5
	v_mul_f64 v[24:25], v[28:29], 0.5
	v_mul_f64 v[6:7], v[6:7], 0.5
	s_waitcnt vmcnt(1)
	v_mul_f64 v[17:18], v[19:20], v[43:44]
	v_fma_f64 v[28:29], v[24:25], v[43:44], v[6:7]
	v_fma_f64 v[30:31], v[24:25], v[43:44], -v[6:7]
	v_fma_f64 v[32:33], v[4:5], 0.5, v[17:18]
	v_fma_f64 v[17:18], v[4:5], 0.5, -v[17:18]
	global_load_dwordx4 v[4:7], v[26:27], off offset:3472
	v_fma_f64 v[26:27], -v[41:42], v[19:20], v[28:29]
	v_fma_f64 v[19:20], -v[41:42], v[19:20], v[30:31]
	v_fma_f64 v[28:29], v[24:25], v[41:42], v[32:33]
	v_fma_f64 v[17:18], -v[24:25], v[41:42], v[17:18]
	ds_write2_b64 v40, v[28:29], v[26:27] offset1:1
	ds_write_b128 v11, v[17:20] offset:3072
	;; [unrolled: 23-line block ×4, first 2 shown]
	ds_read_b128 v[4:7], v37
	ds_read_b128 v[21:24], v11 offset:2304
	s_waitcnt lgkmcnt(0)
	v_add_f64 v[14:15], v[4:5], -v[21:22]
	v_add_f64 v[25:26], v[6:7], v[23:24]
	v_add_f64 v[6:7], v[6:7], -v[23:24]
	v_add_f64 v[4:5], v[4:5], v[21:22]
	v_mul_f64 v[14:15], v[14:15], 0.5
	v_mul_f64 v[23:24], v[25:26], 0.5
	;; [unrolled: 1-line block ×3, first 2 shown]
	s_waitcnt vmcnt(1)
	v_mul_f64 v[21:22], v[14:15], v[19:20]
	v_fma_f64 v[25:26], v[23:24], v[19:20], v[6:7]
	v_fma_f64 v[6:7], v[23:24], v[19:20], -v[6:7]
	v_fma_f64 v[19:20], v[4:5], 0.5, v[21:22]
	v_fma_f64 v[4:5], v[4:5], 0.5, -v[21:22]
	v_fma_f64 v[21:22], -v[17:18], v[14:15], v[25:26]
	v_fma_f64 v[6:7], -v[17:18], v[14:15], v[6:7]
	v_fma_f64 v[14:15], v[23:24], v[17:18], v[19:20]
	v_fma_f64 v[4:5], -v[23:24], v[17:18], v[4:5]
	ds_write2_b64 v37, v[14:15], v[21:22] offset1:1
	ds_write_b128 v11, v[4:7] offset:2304
	ds_read_b128 v[4:7], v36
	ds_read_b128 v[14:17], v11 offset:2048
	s_waitcnt lgkmcnt(0)
	v_add_f64 v[18:19], v[4:5], -v[14:15]
	v_add_f64 v[20:21], v[6:7], v[16:17]
	v_add_f64 v[6:7], v[6:7], -v[16:17]
	v_add_f64 v[4:5], v[4:5], v[14:15]
	v_mul_f64 v[16:17], v[18:19], 0.5
	v_mul_f64 v[18:19], v[20:21], 0.5
	;; [unrolled: 1-line block ×3, first 2 shown]
	s_waitcnt vmcnt(0)
	v_mul_f64 v[14:15], v[16:17], v[2:3]
	v_fma_f64 v[20:21], v[18:19], v[2:3], v[6:7]
	v_fma_f64 v[2:3], v[18:19], v[2:3], -v[6:7]
	v_fma_f64 v[6:7], v[4:5], 0.5, v[14:15]
	v_fma_f64 v[4:5], v[4:5], 0.5, -v[14:15]
	v_fma_f64 v[14:15], -v[0:1], v[16:17], v[20:21]
	v_fma_f64 v[2:3], -v[0:1], v[16:17], v[2:3]
	v_fma_f64 v[6:7], v[18:19], v[0:1], v[6:7]
	v_fma_f64 v[0:1], -v[18:19], v[0:1], v[4:5]
	ds_write2_b64 v36, v[6:7], v[14:15] offset1:1
	ds_write_b128 v11, v[0:3] offset:2048
	s_waitcnt lgkmcnt(0)
	; wave barrier
	s_waitcnt lgkmcnt(0)
	s_and_saveexec_b64 s[0:1], vcc
	s_cbranch_execz .LBB0_20
; %bb.18:
	v_mul_lo_u32 v2, s3, v12
	v_mul_lo_u32 v3, s2, v13
	v_mad_u64_u32 v[0:1], s[0:1], s2, v12, 0
	v_mov_b32_e32 v7, s11
	v_mov_b32_e32 v11, 0
	v_add3_u32 v1, v1, v3, v2
	v_lshlrev_b64 v[0:1], 4, v[0:1]
	v_lshl_add_u32 v2, v10, 4, v34
	v_add_co_u32_e32 v12, vcc, s10, v0
	v_addc_co_u32_e32 v7, vcc, v7, v1, vcc
	v_lshlrev_b64 v[0:1], 4, v[8:9]
	ds_read_b128 v[3:6], v2
	v_add_co_u32_e32 v0, vcc, v12, v0
	ds_read_b128 v[12:15], v2 offset:256
	v_addc_co_u32_e32 v1, vcc, v7, v1, vcc
	v_lshlrev_b64 v[7:8], 4, v[10:11]
	v_add_co_u32_e32 v7, vcc, v0, v7
	v_addc_co_u32_e32 v8, vcc, v1, v8, vcc
	s_waitcnt lgkmcnt(1)
	global_store_dwordx4 v[7:8], v[3:6], off
	v_add_u32_e32 v7, 32, v10
	v_add_u32_e32 v3, 16, v10
	v_mov_b32_e32 v4, v11
	v_lshlrev_b64 v[3:4], 4, v[3:4]
	v_mov_b32_e32 v8, v11
	v_add_co_u32_e32 v3, vcc, v0, v3
	v_addc_co_u32_e32 v4, vcc, v1, v4, vcc
	s_waitcnt lgkmcnt(0)
	global_store_dwordx4 v[3:4], v[12:15], off
	ds_read_b128 v[3:6], v2 offset:512
	ds_read_b128 v[12:15], v2 offset:768
	v_lshlrev_b64 v[7:8], 4, v[7:8]
	v_add_co_u32_e32 v7, vcc, v0, v7
	v_addc_co_u32_e32 v8, vcc, v1, v8, vcc
	s_waitcnt lgkmcnt(1)
	global_store_dwordx4 v[7:8], v[3:6], off
	v_add_u32_e32 v7, 64, v10
	v_add_u32_e32 v3, 48, v10
	v_mov_b32_e32 v4, v11
	v_lshlrev_b64 v[3:4], 4, v[3:4]
	v_mov_b32_e32 v8, v11
	v_add_co_u32_e32 v3, vcc, v0, v3
	v_addc_co_u32_e32 v4, vcc, v1, v4, vcc
	s_waitcnt lgkmcnt(0)
	global_store_dwordx4 v[3:4], v[12:15], off
	ds_read_b128 v[3:6], v2 offset:1024
	ds_read_b128 v[12:15], v2 offset:1280
	;; [unrolled: 16-line block ×6, first 2 shown]
	v_lshlrev_b64 v[7:8], 4, v[7:8]
	v_add_co_u32_e32 v7, vcc, v0, v7
	v_addc_co_u32_e32 v8, vcc, v1, v8, vcc
	s_waitcnt lgkmcnt(1)
	global_store_dwordx4 v[7:8], v[3:6], off
	s_nop 0
	v_add_u32_e32 v3, 0xd0, v10
	v_mov_b32_e32 v4, v11
	v_lshlrev_b64 v[3:4], 4, v[3:4]
	v_add_co_u32_e32 v3, vcc, v0, v3
	v_addc_co_u32_e32 v4, vcc, v1, v4, vcc
	v_cmp_eq_u32_e32 vcc, 15, v10
	s_waitcnt lgkmcnt(0)
	global_store_dwordx4 v[3:4], v[12:15], off
	s_and_b64 exec, exec, vcc
	s_cbranch_execz .LBB0_20
; %bb.19:
	ds_read_b128 v[2:5], v2 offset:3344
	s_waitcnt lgkmcnt(0)
	global_store_dwordx4 v[0:1], v[2:5], off offset:3584
.LBB0_20:
	s_endpgm
	.section	.rodata,"a",@progbits
	.p2align	6, 0x0
	.amdhsa_kernel fft_rtc_fwd_len224_factors_7_2_2_2_2_2_wgs_64_tpt_16_halfLds_dp_op_CI_CI_unitstride_sbrr_R2C_dirReg
		.amdhsa_group_segment_fixed_size 0
		.amdhsa_private_segment_fixed_size 0
		.amdhsa_kernarg_size 104
		.amdhsa_user_sgpr_count 6
		.amdhsa_user_sgpr_private_segment_buffer 1
		.amdhsa_user_sgpr_dispatch_ptr 0
		.amdhsa_user_sgpr_queue_ptr 0
		.amdhsa_user_sgpr_kernarg_segment_ptr 1
		.amdhsa_user_sgpr_dispatch_id 0
		.amdhsa_user_sgpr_flat_scratch_init 0
		.amdhsa_user_sgpr_private_segment_size 0
		.amdhsa_uses_dynamic_stack 0
		.amdhsa_system_sgpr_private_segment_wavefront_offset 0
		.amdhsa_system_sgpr_workgroup_id_x 1
		.amdhsa_system_sgpr_workgroup_id_y 0
		.amdhsa_system_sgpr_workgroup_id_z 0
		.amdhsa_system_sgpr_workgroup_info 0
		.amdhsa_system_vgpr_workitem_id 0
		.amdhsa_next_free_vgpr 112
		.amdhsa_next_free_sgpr 28
		.amdhsa_reserve_vcc 1
		.amdhsa_reserve_flat_scratch 0
		.amdhsa_float_round_mode_32 0
		.amdhsa_float_round_mode_16_64 0
		.amdhsa_float_denorm_mode_32 3
		.amdhsa_float_denorm_mode_16_64 3
		.amdhsa_dx10_clamp 1
		.amdhsa_ieee_mode 1
		.amdhsa_fp16_overflow 0
		.amdhsa_exception_fp_ieee_invalid_op 0
		.amdhsa_exception_fp_denorm_src 0
		.amdhsa_exception_fp_ieee_div_zero 0
		.amdhsa_exception_fp_ieee_overflow 0
		.amdhsa_exception_fp_ieee_underflow 0
		.amdhsa_exception_fp_ieee_inexact 0
		.amdhsa_exception_int_div_zero 0
	.end_amdhsa_kernel
	.text
.Lfunc_end0:
	.size	fft_rtc_fwd_len224_factors_7_2_2_2_2_2_wgs_64_tpt_16_halfLds_dp_op_CI_CI_unitstride_sbrr_R2C_dirReg, .Lfunc_end0-fft_rtc_fwd_len224_factors_7_2_2_2_2_2_wgs_64_tpt_16_halfLds_dp_op_CI_CI_unitstride_sbrr_R2C_dirReg
                                        ; -- End function
	.section	.AMDGPU.csdata,"",@progbits
; Kernel info:
; codeLenInByte = 10956
; NumSgprs: 32
; NumVgprs: 112
; ScratchSize: 0
; MemoryBound: 0
; FloatMode: 240
; IeeeMode: 1
; LDSByteSize: 0 bytes/workgroup (compile time only)
; SGPRBlocks: 3
; VGPRBlocks: 27
; NumSGPRsForWavesPerEU: 32
; NumVGPRsForWavesPerEU: 112
; Occupancy: 2
; WaveLimiterHint : 1
; COMPUTE_PGM_RSRC2:SCRATCH_EN: 0
; COMPUTE_PGM_RSRC2:USER_SGPR: 6
; COMPUTE_PGM_RSRC2:TRAP_HANDLER: 0
; COMPUTE_PGM_RSRC2:TGID_X_EN: 1
; COMPUTE_PGM_RSRC2:TGID_Y_EN: 0
; COMPUTE_PGM_RSRC2:TGID_Z_EN: 0
; COMPUTE_PGM_RSRC2:TIDIG_COMP_CNT: 0
	.type	__hip_cuid_ce49d4b5173276bb,@object ; @__hip_cuid_ce49d4b5173276bb
	.section	.bss,"aw",@nobits
	.globl	__hip_cuid_ce49d4b5173276bb
__hip_cuid_ce49d4b5173276bb:
	.byte	0                               ; 0x0
	.size	__hip_cuid_ce49d4b5173276bb, 1

	.ident	"AMD clang version 19.0.0git (https://github.com/RadeonOpenCompute/llvm-project roc-6.4.0 25133 c7fe45cf4b819c5991fe208aaa96edf142730f1d)"
	.section	".note.GNU-stack","",@progbits
	.addrsig
	.addrsig_sym __hip_cuid_ce49d4b5173276bb
	.amdgpu_metadata
---
amdhsa.kernels:
  - .args:
      - .actual_access:  read_only
        .address_space:  global
        .offset:         0
        .size:           8
        .value_kind:     global_buffer
      - .offset:         8
        .size:           8
        .value_kind:     by_value
      - .actual_access:  read_only
        .address_space:  global
        .offset:         16
        .size:           8
        .value_kind:     global_buffer
      - .actual_access:  read_only
        .address_space:  global
        .offset:         24
        .size:           8
        .value_kind:     global_buffer
      - .actual_access:  read_only
        .address_space:  global
        .offset:         32
        .size:           8
        .value_kind:     global_buffer
      - .offset:         40
        .size:           8
        .value_kind:     by_value
      - .actual_access:  read_only
        .address_space:  global
        .offset:         48
        .size:           8
        .value_kind:     global_buffer
      - .actual_access:  read_only
        .address_space:  global
        .offset:         56
        .size:           8
        .value_kind:     global_buffer
      - .offset:         64
        .size:           4
        .value_kind:     by_value
      - .actual_access:  read_only
        .address_space:  global
        .offset:         72
        .size:           8
        .value_kind:     global_buffer
      - .actual_access:  read_only
        .address_space:  global
        .offset:         80
        .size:           8
        .value_kind:     global_buffer
      - .actual_access:  read_only
        .address_space:  global
        .offset:         88
        .size:           8
        .value_kind:     global_buffer
      - .actual_access:  write_only
        .address_space:  global
        .offset:         96
        .size:           8
        .value_kind:     global_buffer
    .group_segment_fixed_size: 0
    .kernarg_segment_align: 8
    .kernarg_segment_size: 104
    .language:       OpenCL C
    .language_version:
      - 2
      - 0
    .max_flat_workgroup_size: 64
    .name:           fft_rtc_fwd_len224_factors_7_2_2_2_2_2_wgs_64_tpt_16_halfLds_dp_op_CI_CI_unitstride_sbrr_R2C_dirReg
    .private_segment_fixed_size: 0
    .sgpr_count:     32
    .sgpr_spill_count: 0
    .symbol:         fft_rtc_fwd_len224_factors_7_2_2_2_2_2_wgs_64_tpt_16_halfLds_dp_op_CI_CI_unitstride_sbrr_R2C_dirReg.kd
    .uniform_work_group_size: 1
    .uses_dynamic_stack: false
    .vgpr_count:     112
    .vgpr_spill_count: 0
    .wavefront_size: 64
amdhsa.target:   amdgcn-amd-amdhsa--gfx906
amdhsa.version:
  - 1
  - 2
...

	.end_amdgpu_metadata
